;; amdgpu-corpus repo=ROCm/hip-tests kind=compiled arch=gfx1250 opt=O3
	.amdgcn_target "amdgcn-amd-amdhsa--gfx1250"
	.amdhsa_code_object_version 6
	.section	.text._ZL5Delayjj,"axG",@progbits,_ZL5Delayjj,comdat
	.globl	_ZL5Delayjj                     ; -- Begin function _ZL5Delayjj
	.p2align	8
	.type	_ZL5Delayjj,@function
_ZL5Delayjj:                            ; @_ZL5Delayjj
; %bb.0:
	s_load_b64 s[0:1], s[0:1], 0x0
	s_mov_b32 s3, 0
	s_wait_kmcnt 0x0
	s_cmp_eq_u32 s0, 0
	s_cbranch_scc1 .LBB0_6
; %bb.1:
	s_mov_b32 s2, s1
	s_branch .LBB0_3
.LBB0_2:                                ;   in Loop: Header=BB0_3 Depth=1
	s_add_co_i32 s0, s0, -1
	s_delay_alu instid0(SALU_CYCLE_1)
	s_cmp_eq_u32 s0, 0
	s_cbranch_scc1 .LBB0_6
.LBB0_3:                                ; =>This Loop Header: Depth=1
                                        ;     Child Loop BB0_4 Depth 2
	s_sendmsg_rtn_b64 s[4:5], sendmsg(MSG_RTN_GET_REALTIME)
.LBB0_4:                                ;   Parent Loop BB0_3 Depth=1
                                        ; =>  This Inner Loop Header: Depth=2
	s_sendmsg_rtn_b64 s[6:7], sendmsg(MSG_RTN_GET_REALTIME)
	s_wait_kmcnt 0x0
	s_sub_nc_u64 s[6:7], s[6:7], s[4:5]
	s_delay_alu instid0(SALU_CYCLE_1)
	v_cmp_ge_u64_e64 s1, s[6:7], s[2:3]
	s_and_b32 vcc_lo, exec_lo, s1
	s_cbranch_vccnz .LBB0_2
; %bb.5:                                ;   in Loop: Header=BB0_4 Depth=2
	s_sleep 10
	s_branch .LBB0_4
.LBB0_6:
	s_endpgm
	.section	.rodata,"a",@progbits
	.p2align	6, 0x0
	.amdhsa_kernel _ZL5Delayjj
		.amdhsa_group_segment_fixed_size 0
		.amdhsa_private_segment_fixed_size 0
		.amdhsa_kernarg_size 8
		.amdhsa_user_sgpr_count 2
		.amdhsa_user_sgpr_dispatch_ptr 0
		.amdhsa_user_sgpr_queue_ptr 0
		.amdhsa_user_sgpr_kernarg_segment_ptr 1
		.amdhsa_user_sgpr_dispatch_id 0
		.amdhsa_user_sgpr_kernarg_preload_length 0
		.amdhsa_user_sgpr_kernarg_preload_offset 0
		.amdhsa_user_sgpr_private_segment_size 0
		.amdhsa_wavefront_size32 1
		.amdhsa_uses_dynamic_stack 0
		.amdhsa_enable_private_segment 0
		.amdhsa_system_sgpr_workgroup_id_x 1
		.amdhsa_system_sgpr_workgroup_id_y 0
		.amdhsa_system_sgpr_workgroup_id_z 0
		.amdhsa_system_sgpr_workgroup_info 0
		.amdhsa_system_vgpr_workitem_id 0
		.amdhsa_next_free_vgpr 1
		.amdhsa_next_free_sgpr 8
		.amdhsa_named_barrier_count 0
		.amdhsa_reserve_vcc 1
		.amdhsa_float_round_mode_32 0
		.amdhsa_float_round_mode_16_64 0
		.amdhsa_float_denorm_mode_32 3
		.amdhsa_float_denorm_mode_16_64 3
		.amdhsa_fp16_overflow 0
		.amdhsa_memory_ordered 1
		.amdhsa_forward_progress 1
		.amdhsa_inst_pref_size 1
		.amdhsa_round_robin_scheduling 0
		.amdhsa_exception_fp_ieee_invalid_op 0
		.amdhsa_exception_fp_denorm_src 0
		.amdhsa_exception_fp_ieee_div_zero 0
		.amdhsa_exception_fp_ieee_overflow 0
		.amdhsa_exception_fp_ieee_underflow 0
		.amdhsa_exception_fp_ieee_inexact 0
		.amdhsa_exception_int_div_zero 0
	.end_amdhsa_kernel
	.section	.text._ZL5Delayjj,"axG",@progbits,_ZL5Delayjj,comdat
.Lfunc_end0:
	.size	_ZL5Delayjj, .Lfunc_end0-_ZL5Delayjj
                                        ; -- End function
	.set _ZL5Delayjj.num_vgpr, 0
	.set _ZL5Delayjj.num_agpr, 0
	.set _ZL5Delayjj.numbered_sgpr, 8
	.set _ZL5Delayjj.num_named_barrier, 0
	.set _ZL5Delayjj.private_seg_size, 0
	.set _ZL5Delayjj.uses_vcc, 1
	.set _ZL5Delayjj.uses_flat_scratch, 0
	.set _ZL5Delayjj.has_dyn_sized_stack, 0
	.set _ZL5Delayjj.has_recursion, 0
	.set _ZL5Delayjj.has_indirect_call, 0
	.section	.AMDGPU.csdata,"",@progbits
; Kernel info:
; codeLenInByte = 96
; TotalNumSgprs: 10
; NumVgprs: 0
; ScratchSize: 0
; MemoryBound: 0
; FloatMode: 240
; IeeeMode: 1
; LDSByteSize: 0 bytes/workgroup (compile time only)
; SGPRBlocks: 0
; VGPRBlocks: 0
; NumSGPRsForWavesPerEU: 10
; NumVGPRsForWavesPerEU: 1
; NamedBarCnt: 0
; Occupancy: 16
; WaveLimiterHint : 0
; COMPUTE_PGM_RSRC2:SCRATCH_EN: 0
; COMPUTE_PGM_RSRC2:USER_SGPR: 2
; COMPUTE_PGM_RSRC2:TRAP_HANDLER: 0
; COMPUTE_PGM_RSRC2:TGID_X_EN: 1
; COMPUTE_PGM_RSRC2:TGID_Y_EN: 0
; COMPUTE_PGM_RSRC2:TGID_Z_EN: 0
; COMPUTE_PGM_RSRC2:TIDIG_COMP_CNT: 0
	.text
	.protected	_Z11verifyArrayPiiiS_   ; -- Begin function _Z11verifyArrayPiiiS_
	.globl	_Z11verifyArrayPiiiS_
	.p2align	8
	.type	_Z11verifyArrayPiiiS_,@function
_Z11verifyArrayPiiiS_:                  ; @_Z11verifyArrayPiiiS_
; %bb.0:
	s_load_b64 s[2:3], s[0:1], 0x8
	s_mov_b32 s6, 1
	s_wait_kmcnt 0x0
	s_cmp_lt_i32 s2, 1
	s_cbranch_scc1 .LBB1_5
; %bb.1:
	s_load_b64 s[4:5], s[0:1], 0x0
	s_branch .LBB1_3
.LBB1_2:                                ;   in Loop: Header=BB1_3 Depth=1
	s_and_not1_b32 vcc_lo, exec_lo, s7
	s_cbranch_vccz .LBB1_5
.LBB1_3:                                ; =>This Inner Loop Header: Depth=1
	s_wait_kmcnt 0x0
	s_load_b32 s6, s[4:5], 0x0
	s_mov_b32 s7, -1
	s_wait_kmcnt 0x0
	s_cmp_eq_u32 s6, s3
	s_mov_b32 s6, 0
	s_cbranch_scc0 .LBB1_2
; %bb.4:                                ;   in Loop: Header=BB1_3 Depth=1
	s_add_co_i32 s2, s2, -1
	s_add_nc_u64 s[4:5], s[4:5], 4
	s_cmp_eq_u32 s2, 0
	s_mov_b32 s6, 1
	s_cselect_b32 s7, -1, 0
	s_branch .LBB1_2
.LBB1_5:
	s_load_b64 s[0:1], s[0:1], 0x10
	v_dual_mov_b32 v0, 0 :: v_dual_mov_b32 v1, s6
	s_wait_kmcnt 0x0
	global_store_b32 v0, v1, s[0:1]
	s_endpgm
	.section	.rodata,"a",@progbits
	.p2align	6, 0x0
	.amdhsa_kernel _Z11verifyArrayPiiiS_
		.amdhsa_group_segment_fixed_size 0
		.amdhsa_private_segment_fixed_size 0
		.amdhsa_kernarg_size 24
		.amdhsa_user_sgpr_count 2
		.amdhsa_user_sgpr_dispatch_ptr 0
		.amdhsa_user_sgpr_queue_ptr 0
		.amdhsa_user_sgpr_kernarg_segment_ptr 1
		.amdhsa_user_sgpr_dispatch_id 0
		.amdhsa_user_sgpr_kernarg_preload_length 0
		.amdhsa_user_sgpr_kernarg_preload_offset 0
		.amdhsa_user_sgpr_private_segment_size 0
		.amdhsa_wavefront_size32 1
		.amdhsa_uses_dynamic_stack 0
		.amdhsa_enable_private_segment 0
		.amdhsa_system_sgpr_workgroup_id_x 1
		.amdhsa_system_sgpr_workgroup_id_y 0
		.amdhsa_system_sgpr_workgroup_id_z 0
		.amdhsa_system_sgpr_workgroup_info 0
		.amdhsa_system_vgpr_workitem_id 0
		.amdhsa_next_free_vgpr 2
		.amdhsa_next_free_sgpr 8
		.amdhsa_named_barrier_count 0
		.amdhsa_reserve_vcc 1
		.amdhsa_float_round_mode_32 0
		.amdhsa_float_round_mode_16_64 0
		.amdhsa_float_denorm_mode_32 3
		.amdhsa_float_denorm_mode_16_64 3
		.amdhsa_fp16_overflow 0
		.amdhsa_memory_ordered 1
		.amdhsa_forward_progress 1
		.amdhsa_inst_pref_size 2
		.amdhsa_round_robin_scheduling 0
		.amdhsa_exception_fp_ieee_invalid_op 0
		.amdhsa_exception_fp_denorm_src 0
		.amdhsa_exception_fp_ieee_div_zero 0
		.amdhsa_exception_fp_ieee_overflow 0
		.amdhsa_exception_fp_ieee_underflow 0
		.amdhsa_exception_fp_ieee_inexact 0
		.amdhsa_exception_int_div_zero 0
	.end_amdhsa_kernel
	.text
.Lfunc_end1:
	.size	_Z11verifyArrayPiiiS_, .Lfunc_end1-_Z11verifyArrayPiiiS_
                                        ; -- End function
	.set _Z11verifyArrayPiiiS_.num_vgpr, 2
	.set _Z11verifyArrayPiiiS_.num_agpr, 0
	.set _Z11verifyArrayPiiiS_.numbered_sgpr, 8
	.set _Z11verifyArrayPiiiS_.num_named_barrier, 0
	.set _Z11verifyArrayPiiiS_.private_seg_size, 0
	.set _Z11verifyArrayPiiiS_.uses_vcc, 1
	.set _Z11verifyArrayPiiiS_.uses_flat_scratch, 0
	.set _Z11verifyArrayPiiiS_.has_dyn_sized_stack, 0
	.set _Z11verifyArrayPiiiS_.has_recursion, 0
	.set _Z11verifyArrayPiiiS_.has_indirect_call, 0
	.section	.AMDGPU.csdata,"",@progbits
; Kernel info:
; codeLenInByte = 136
; TotalNumSgprs: 10
; NumVgprs: 2
; ScratchSize: 0
; MemoryBound: 0
; FloatMode: 240
; IeeeMode: 1
; LDSByteSize: 0 bytes/workgroup (compile time only)
; SGPRBlocks: 0
; VGPRBlocks: 0
; NumSGPRsForWavesPerEU: 10
; NumVGPRsForWavesPerEU: 2
; NamedBarCnt: 0
; Occupancy: 16
; WaveLimiterHint : 0
; COMPUTE_PGM_RSRC2:SCRATCH_EN: 0
; COMPUTE_PGM_RSRC2:USER_SGPR: 2
; COMPUTE_PGM_RSRC2:TRAP_HANDLER: 0
; COMPUTE_PGM_RSRC2:TGID_X_EN: 1
; COMPUTE_PGM_RSRC2:TGID_Y_EN: 0
; COMPUTE_PGM_RSRC2:TGID_Z_EN: 0
; COMPUTE_PGM_RSRC2:TIDIG_COMP_CNT: 0
	.text
	.protected	_Z15verifyCharArrayPciiPi ; -- Begin function _Z15verifyCharArrayPciiPi
	.globl	_Z15verifyCharArrayPciiPi
	.p2align	8
	.type	_Z15verifyCharArrayPciiPi,@function
_Z15verifyCharArrayPciiPi:              ; @_Z15verifyCharArrayPciiPi
; %bb.0:
	s_load_b64 s[2:3], s[0:1], 0x8
	s_mov_b32 s6, 1
	s_wait_kmcnt 0x0
	s_cmp_lt_i32 s2, 1
	s_cbranch_scc1 .LBB2_5
; %bb.1:
	s_load_b64 s[4:5], s[0:1], 0x0
	s_branch .LBB2_3
.LBB2_2:                                ;   in Loop: Header=BB2_3 Depth=1
	s_and_not1_b32 vcc_lo, exec_lo, s7
	s_cbranch_vccz .LBB2_5
.LBB2_3:                                ; =>This Inner Loop Header: Depth=1
	s_wait_kmcnt 0x0
	s_load_i8 s6, s[4:5], 0x0
	s_mov_b32 s7, -1
	s_wait_kmcnt 0x0
	s_cmp_eq_u32 s3, s6
	s_mov_b32 s6, 0
	s_cbranch_scc0 .LBB2_2
; %bb.4:                                ;   in Loop: Header=BB2_3 Depth=1
	s_add_co_i32 s2, s2, -1
	s_add_nc_u64 s[4:5], s[4:5], 1
	s_cmp_eq_u32 s2, 0
	s_mov_b32 s6, 1
	s_cselect_b32 s7, -1, 0
	s_branch .LBB2_2
.LBB2_5:
	s_load_b64 s[0:1], s[0:1], 0x10
	v_dual_mov_b32 v0, 0 :: v_dual_mov_b32 v1, s6
	s_wait_kmcnt 0x0
	global_store_b32 v0, v1, s[0:1]
	s_endpgm
	.section	.rodata,"a",@progbits
	.p2align	6, 0x0
	.amdhsa_kernel _Z15verifyCharArrayPciiPi
		.amdhsa_group_segment_fixed_size 0
		.amdhsa_private_segment_fixed_size 0
		.amdhsa_kernarg_size 24
		.amdhsa_user_sgpr_count 2
		.amdhsa_user_sgpr_dispatch_ptr 0
		.amdhsa_user_sgpr_queue_ptr 0
		.amdhsa_user_sgpr_kernarg_segment_ptr 1
		.amdhsa_user_sgpr_dispatch_id 0
		.amdhsa_user_sgpr_kernarg_preload_length 0
		.amdhsa_user_sgpr_kernarg_preload_offset 0
		.amdhsa_user_sgpr_private_segment_size 0
		.amdhsa_wavefront_size32 1
		.amdhsa_uses_dynamic_stack 0
		.amdhsa_enable_private_segment 0
		.amdhsa_system_sgpr_workgroup_id_x 1
		.amdhsa_system_sgpr_workgroup_id_y 0
		.amdhsa_system_sgpr_workgroup_id_z 0
		.amdhsa_system_sgpr_workgroup_info 0
		.amdhsa_system_vgpr_workitem_id 0
		.amdhsa_next_free_vgpr 2
		.amdhsa_next_free_sgpr 8
		.amdhsa_named_barrier_count 0
		.amdhsa_reserve_vcc 1
		.amdhsa_float_round_mode_32 0
		.amdhsa_float_round_mode_16_64 0
		.amdhsa_float_denorm_mode_32 3
		.amdhsa_float_denorm_mode_16_64 3
		.amdhsa_fp16_overflow 0
		.amdhsa_memory_ordered 1
		.amdhsa_forward_progress 1
		.amdhsa_inst_pref_size 2
		.amdhsa_round_robin_scheduling 0
		.amdhsa_exception_fp_ieee_invalid_op 0
		.amdhsa_exception_fp_denorm_src 0
		.amdhsa_exception_fp_ieee_div_zero 0
		.amdhsa_exception_fp_ieee_overflow 0
		.amdhsa_exception_fp_ieee_underflow 0
		.amdhsa_exception_fp_ieee_inexact 0
		.amdhsa_exception_int_div_zero 0
	.end_amdhsa_kernel
	.text
.Lfunc_end2:
	.size	_Z15verifyCharArrayPciiPi, .Lfunc_end2-_Z15verifyCharArrayPciiPi
                                        ; -- End function
	.set _Z15verifyCharArrayPciiPi.num_vgpr, 2
	.set _Z15verifyCharArrayPciiPi.num_agpr, 0
	.set _Z15verifyCharArrayPciiPi.numbered_sgpr, 8
	.set _Z15verifyCharArrayPciiPi.num_named_barrier, 0
	.set _Z15verifyCharArrayPciiPi.private_seg_size, 0
	.set _Z15verifyCharArrayPciiPi.uses_vcc, 1
	.set _Z15verifyCharArrayPciiPi.uses_flat_scratch, 0
	.set _Z15verifyCharArrayPciiPi.has_dyn_sized_stack, 0
	.set _Z15verifyCharArrayPciiPi.has_recursion, 0
	.set _Z15verifyCharArrayPciiPi.has_indirect_call, 0
	.section	.AMDGPU.csdata,"",@progbits
; Kernel info:
; codeLenInByte = 136
; TotalNumSgprs: 10
; NumVgprs: 2
; ScratchSize: 0
; MemoryBound: 0
; FloatMode: 240
; IeeeMode: 1
; LDSByteSize: 0 bytes/workgroup (compile time only)
; SGPRBlocks: 0
; VGPRBlocks: 0
; NumSGPRsForWavesPerEU: 10
; NumVGPRsForWavesPerEU: 2
; NamedBarCnt: 0
; Occupancy: 16
; WaveLimiterHint : 0
; COMPUTE_PGM_RSRC2:SCRATCH_EN: 0
; COMPUTE_PGM_RSRC2:USER_SGPR: 2
; COMPUTE_PGM_RSRC2:TRAP_HANDLER: 0
; COMPUTE_PGM_RSRC2:TGID_X_EN: 1
; COMPUTE_PGM_RSRC2:TGID_Y_EN: 0
; COMPUTE_PGM_RSRC2:TGID_Z_EN: 0
; COMPUTE_PGM_RSRC2:TIDIG_COMP_CNT: 0
	.text
	.protected	_Z9fillArrayPiii        ; -- Begin function _Z9fillArrayPiii
	.globl	_Z9fillArrayPiii
	.p2align	8
	.type	_Z9fillArrayPiii,@function
_Z9fillArrayPiii:                       ; @_Z9fillArrayPiii
; %bb.0:
	s_load_b64 s[2:3], s[0:1], 0x8
	s_wait_kmcnt 0x0
	s_cmp_lt_i32 s2, 1
	s_cbranch_scc1 .LBB3_8
; %bb.1:
	s_load_b64 s[0:1], s[0:1], 0x0
	s_cmp_lt_u32 s2, 4
	s_cbranch_scc1 .LBB3_5
; %bb.2:
	v_dual_mov_b32 v0, s3 :: v_dual_mov_b32 v1, s3
	v_dual_mov_b32 v4, 0 :: v_dual_mov_b32 v2, s3
	v_mov_b32_e32 v3, s3
	s_and_b32 s4, s2, 0x7ffffffc
	s_wait_kmcnt 0x0
	s_add_nc_u64 s[6:7], s[0:1], 8
	s_mov_b32 s5, s4
.LBB3_3:                                ; =>This Inner Loop Header: Depth=1
	s_delay_alu instid0(SALU_CYCLE_1)
	s_add_co_i32 s5, s5, -4
	global_store_b128 v4, v[0:3], s[6:7] offset:-8
	s_cmp_lg_u32 s5, 0
	s_wait_xcnt 0x0
	s_add_nc_u64 s[6:7], s[6:7], 16
	s_cbranch_scc1 .LBB3_3
; %bb.4:
	s_cmp_lg_u32 s2, s4
	s_cselect_b32 s5, -1, 0
	s_delay_alu instid0(SALU_CYCLE_1)
	s_and_b32 vcc_lo, exec_lo, s5
	s_cbranch_vccnz .LBB3_6
	s_branch .LBB3_8
.LBB3_5:
	s_mov_b32 s4, 0
	s_cbranch_execz .LBB3_8
.LBB3_6:
	s_mov_b32 s5, 0
	v_dual_mov_b32 v0, 0 :: v_dual_mov_b32 v1, s3
	s_lshl_b64 s[6:7], s[4:5], 2
	s_sub_co_i32 s2, s2, s4
	s_wait_kmcnt 0x0
	s_add_nc_u64 s[0:1], s[0:1], s[6:7]
.LBB3_7:                                ; =>This Inner Loop Header: Depth=1
	s_add_co_i32 s2, s2, -1
	global_store_b32 v0, v1, s[0:1]
	s_cmp_eq_u32 s2, 0
	s_wait_xcnt 0x0
	s_add_nc_u64 s[0:1], s[0:1], 4
	s_cbranch_scc0 .LBB3_7
.LBB3_8:
	s_endpgm
	.section	.rodata,"a",@progbits
	.p2align	6, 0x0
	.amdhsa_kernel _Z9fillArrayPiii
		.amdhsa_group_segment_fixed_size 0
		.amdhsa_private_segment_fixed_size 0
		.amdhsa_kernarg_size 16
		.amdhsa_user_sgpr_count 2
		.amdhsa_user_sgpr_dispatch_ptr 0
		.amdhsa_user_sgpr_queue_ptr 0
		.amdhsa_user_sgpr_kernarg_segment_ptr 1
		.amdhsa_user_sgpr_dispatch_id 0
		.amdhsa_user_sgpr_kernarg_preload_length 0
		.amdhsa_user_sgpr_kernarg_preload_offset 0
		.amdhsa_user_sgpr_private_segment_size 0
		.amdhsa_wavefront_size32 1
		.amdhsa_uses_dynamic_stack 0
		.amdhsa_enable_private_segment 0
		.amdhsa_system_sgpr_workgroup_id_x 1
		.amdhsa_system_sgpr_workgroup_id_y 0
		.amdhsa_system_sgpr_workgroup_id_z 0
		.amdhsa_system_sgpr_workgroup_info 0
		.amdhsa_system_vgpr_workitem_id 0
		.amdhsa_next_free_vgpr 5
		.amdhsa_next_free_sgpr 8
		.amdhsa_named_barrier_count 0
		.amdhsa_reserve_vcc 1
		.amdhsa_float_round_mode_32 0
		.amdhsa_float_round_mode_16_64 0
		.amdhsa_float_denorm_mode_32 3
		.amdhsa_float_denorm_mode_16_64 3
		.amdhsa_fp16_overflow 0
		.amdhsa_memory_ordered 1
		.amdhsa_forward_progress 1
		.amdhsa_inst_pref_size 2
		.amdhsa_round_robin_scheduling 0
		.amdhsa_exception_fp_ieee_invalid_op 0
		.amdhsa_exception_fp_denorm_src 0
		.amdhsa_exception_fp_ieee_div_zero 0
		.amdhsa_exception_fp_ieee_overflow 0
		.amdhsa_exception_fp_ieee_underflow 0
		.amdhsa_exception_fp_ieee_inexact 0
		.amdhsa_exception_int_div_zero 0
	.end_amdhsa_kernel
	.text
.Lfunc_end3:
	.size	_Z9fillArrayPiii, .Lfunc_end3-_Z9fillArrayPiii
                                        ; -- End function
	.set _Z9fillArrayPiii.num_vgpr, 5
	.set _Z9fillArrayPiii.num_agpr, 0
	.set _Z9fillArrayPiii.numbered_sgpr, 8
	.set _Z9fillArrayPiii.num_named_barrier, 0
	.set _Z9fillArrayPiii.private_seg_size, 0
	.set _Z9fillArrayPiii.uses_vcc, 1
	.set _Z9fillArrayPiii.uses_flat_scratch, 0
	.set _Z9fillArrayPiii.has_dyn_sized_stack, 0
	.set _Z9fillArrayPiii.has_recursion, 0
	.set _Z9fillArrayPiii.has_indirect_call, 0
	.section	.AMDGPU.csdata,"",@progbits
; Kernel info:
; codeLenInByte = 212
; TotalNumSgprs: 10
; NumVgprs: 5
; ScratchSize: 0
; MemoryBound: 0
; FloatMode: 240
; IeeeMode: 1
; LDSByteSize: 0 bytes/workgroup (compile time only)
; SGPRBlocks: 0
; VGPRBlocks: 0
; NumSGPRsForWavesPerEU: 10
; NumVGPRsForWavesPerEU: 5
; NamedBarCnt: 0
; Occupancy: 16
; WaveLimiterHint : 0
; COMPUTE_PGM_RSRC2:SCRATCH_EN: 0
; COMPUTE_PGM_RSRC2:USER_SGPR: 2
; COMPUTE_PGM_RSRC2:TRAP_HANDLER: 0
; COMPUTE_PGM_RSRC2:TGID_X_EN: 1
; COMPUTE_PGM_RSRC2:TGID_Y_EN: 0
; COMPUTE_PGM_RSRC2:TGID_Z_EN: 0
; COMPUTE_PGM_RSRC2:TIDIG_COMP_CNT: 0
	.text
	.protected	_Z12addOneKernelPii     ; -- Begin function _Z12addOneKernelPii
	.globl	_Z12addOneKernelPii
	.p2align	8
	.type	_Z12addOneKernelPii,@function
_Z12addOneKernelPii:                    ; @_Z12addOneKernelPii
; %bb.0:
	s_clause 0x1
	s_load_b32 s2, s[0:1], 0x1c
	s_load_b32 s4, s[0:1], 0x8
	s_bfe_u32 s3, ttmp6, 0x4000c
	s_and_b32 s5, ttmp6, 15
	s_add_co_i32 s3, s3, 1
	s_getreg_b32 s6, hwreg(HW_REG_IB_STS2, 6, 4)
	s_mul_i32 s3, ttmp9, s3
	s_delay_alu instid0(SALU_CYCLE_1)
	s_add_co_i32 s5, s5, s3
	s_wait_kmcnt 0x0
	s_and_b32 s2, s2, 0xffff
	s_cmp_eq_u32 s6, 0
	s_cselect_b32 s3, ttmp9, s5
	s_mov_b32 s5, 0
	v_mad_u32 v0, s3, s2, v0
	s_mov_b32 s3, exec_lo
	s_delay_alu instid0(VALU_DEP_1)
	v_cmpx_gt_i32_e64 s4, v0
	s_cbranch_execz .LBB4_3
; %bb.1:
	s_add_nc_u64 s[6:7], s[0:1], 16
	v_ashrrev_i32_e32 v1, 31, v0
	s_load_b32 s3, s[6:7], 0x0
	s_load_b64 s[8:9], s[0:1], 0x0
	s_wait_kmcnt 0x0
	s_mul_i32 s0, s3, s2
	v_lshl_add_u64 v[2:3], v[0:1], 2, s[8:9]
	s_ashr_i32 s1, s0, 31
	s_delay_alu instid0(SALU_CYCLE_1)
	s_lshl_b64 s[2:3], s[0:1], 2
.LBB4_2:                                ; =>This Inner Loop Header: Depth=1
	global_load_b32 v1, v[2:3], off
	s_wait_loadcnt 0x0
	v_dual_add_nc_u32 v0, s0, v0 :: v_dual_add_nc_u32 v1, 1, v1
	s_delay_alu instid0(VALU_DEP_1) | instskip(SKIP_4) | instid1(SALU_CYCLE_1)
	v_cmp_le_i32_e32 vcc_lo, s4, v0
	global_store_b32 v[2:3], v1, off
	s_wait_xcnt 0x0
	v_add_nc_u64_e32 v[2:3], s[2:3], v[2:3]
	s_or_b32 s5, vcc_lo, s5
	s_and_not1_b32 exec_lo, exec_lo, s5
	s_cbranch_execnz .LBB4_2
.LBB4_3:
	s_endpgm
	.section	.rodata,"a",@progbits
	.p2align	6, 0x0
	.amdhsa_kernel _Z12addOneKernelPii
		.amdhsa_group_segment_fixed_size 0
		.amdhsa_private_segment_fixed_size 0
		.amdhsa_kernarg_size 272
		.amdhsa_user_sgpr_count 2
		.amdhsa_user_sgpr_dispatch_ptr 0
		.amdhsa_user_sgpr_queue_ptr 0
		.amdhsa_user_sgpr_kernarg_segment_ptr 1
		.amdhsa_user_sgpr_dispatch_id 0
		.amdhsa_user_sgpr_kernarg_preload_length 0
		.amdhsa_user_sgpr_kernarg_preload_offset 0
		.amdhsa_user_sgpr_private_segment_size 0
		.amdhsa_wavefront_size32 1
		.amdhsa_uses_dynamic_stack 0
		.amdhsa_enable_private_segment 0
		.amdhsa_system_sgpr_workgroup_id_x 1
		.amdhsa_system_sgpr_workgroup_id_y 0
		.amdhsa_system_sgpr_workgroup_id_z 0
		.amdhsa_system_sgpr_workgroup_info 0
		.amdhsa_system_vgpr_workitem_id 0
		.amdhsa_next_free_vgpr 4
		.amdhsa_next_free_sgpr 10
		.amdhsa_named_barrier_count 0
		.amdhsa_reserve_vcc 1
		.amdhsa_float_round_mode_32 0
		.amdhsa_float_round_mode_16_64 0
		.amdhsa_float_denorm_mode_32 3
		.amdhsa_float_denorm_mode_16_64 3
		.amdhsa_fp16_overflow 0
		.amdhsa_memory_ordered 1
		.amdhsa_forward_progress 1
		.amdhsa_inst_pref_size 2
		.amdhsa_round_robin_scheduling 0
		.amdhsa_exception_fp_ieee_invalid_op 0
		.amdhsa_exception_fp_denorm_src 0
		.amdhsa_exception_fp_ieee_div_zero 0
		.amdhsa_exception_fp_ieee_overflow 0
		.amdhsa_exception_fp_ieee_underflow 0
		.amdhsa_exception_fp_ieee_inexact 0
		.amdhsa_exception_int_div_zero 0
	.end_amdhsa_kernel
	.text
.Lfunc_end4:
	.size	_Z12addOneKernelPii, .Lfunc_end4-_Z12addOneKernelPii
                                        ; -- End function
	.set _Z12addOneKernelPii.num_vgpr, 4
	.set _Z12addOneKernelPii.num_agpr, 0
	.set _Z12addOneKernelPii.numbered_sgpr, 10
	.set _Z12addOneKernelPii.num_named_barrier, 0
	.set _Z12addOneKernelPii.private_seg_size, 0
	.set _Z12addOneKernelPii.uses_vcc, 1
	.set _Z12addOneKernelPii.uses_flat_scratch, 0
	.set _Z12addOneKernelPii.has_dyn_sized_stack, 0
	.set _Z12addOneKernelPii.has_recursion, 0
	.set _Z12addOneKernelPii.has_indirect_call, 0
	.section	.AMDGPU.csdata,"",@progbits
; Kernel info:
; codeLenInByte = 228
; TotalNumSgprs: 12
; NumVgprs: 4
; ScratchSize: 0
; MemoryBound: 0
; FloatMode: 240
; IeeeMode: 1
; LDSByteSize: 0 bytes/workgroup (compile time only)
; SGPRBlocks: 0
; VGPRBlocks: 0
; NumSGPRsForWavesPerEU: 12
; NumVGPRsForWavesPerEU: 4
; NamedBarCnt: 0
; Occupancy: 16
; WaveLimiterHint : 0
; COMPUTE_PGM_RSRC2:SCRATCH_EN: 0
; COMPUTE_PGM_RSRC2:USER_SGPR: 2
; COMPUTE_PGM_RSRC2:TRAP_HANDLER: 0
; COMPUTE_PGM_RSRC2:TGID_X_EN: 1
; COMPUTE_PGM_RSRC2:TGID_Y_EN: 0
; COMPUTE_PGM_RSRC2:TGID_Z_EN: 0
; COMPUTE_PGM_RSRC2:TIDIG_COMP_CNT: 0
	.text
	.protected	_Z12addTwoKernelPii     ; -- Begin function _Z12addTwoKernelPii
	.globl	_Z12addTwoKernelPii
	.p2align	8
	.type	_Z12addTwoKernelPii,@function
_Z12addTwoKernelPii:                    ; @_Z12addTwoKernelPii
; %bb.0:
	s_clause 0x1
	s_load_b32 s2, s[0:1], 0x1c
	s_load_b32 s4, s[0:1], 0x8
	s_bfe_u32 s3, ttmp6, 0x4000c
	s_and_b32 s5, ttmp6, 15
	s_add_co_i32 s3, s3, 1
	s_getreg_b32 s6, hwreg(HW_REG_IB_STS2, 6, 4)
	s_mul_i32 s3, ttmp9, s3
	s_delay_alu instid0(SALU_CYCLE_1)
	s_add_co_i32 s5, s5, s3
	s_wait_kmcnt 0x0
	s_and_b32 s2, s2, 0xffff
	s_cmp_eq_u32 s6, 0
	s_cselect_b32 s3, ttmp9, s5
	s_mov_b32 s5, 0
	v_mad_u32 v0, s3, s2, v0
	s_mov_b32 s3, exec_lo
	s_delay_alu instid0(VALU_DEP_1)
	v_cmpx_gt_i32_e64 s4, v0
	s_cbranch_execz .LBB5_3
; %bb.1:
	s_add_nc_u64 s[6:7], s[0:1], 16
	v_ashrrev_i32_e32 v1, 31, v0
	s_load_b32 s3, s[6:7], 0x0
	s_load_b64 s[8:9], s[0:1], 0x0
	s_wait_kmcnt 0x0
	s_mul_i32 s0, s3, s2
	v_lshl_add_u64 v[2:3], v[0:1], 2, s[8:9]
	s_ashr_i32 s1, s0, 31
	s_delay_alu instid0(SALU_CYCLE_1)
	s_lshl_b64 s[2:3], s[0:1], 2
.LBB5_2:                                ; =>This Inner Loop Header: Depth=1
	global_load_b32 v1, v[2:3], off
	s_wait_loadcnt 0x0
	v_dual_add_nc_u32 v0, s0, v0 :: v_dual_add_nc_u32 v1, 2, v1
	s_delay_alu instid0(VALU_DEP_1) | instskip(SKIP_4) | instid1(SALU_CYCLE_1)
	v_cmp_le_i32_e32 vcc_lo, s4, v0
	global_store_b32 v[2:3], v1, off
	s_wait_xcnt 0x0
	v_add_nc_u64_e32 v[2:3], s[2:3], v[2:3]
	s_or_b32 s5, vcc_lo, s5
	s_and_not1_b32 exec_lo, exec_lo, s5
	s_cbranch_execnz .LBB5_2
.LBB5_3:
	s_endpgm
	.section	.rodata,"a",@progbits
	.p2align	6, 0x0
	.amdhsa_kernel _Z12addTwoKernelPii
		.amdhsa_group_segment_fixed_size 0
		.amdhsa_private_segment_fixed_size 0
		.amdhsa_kernarg_size 272
		.amdhsa_user_sgpr_count 2
		.amdhsa_user_sgpr_dispatch_ptr 0
		.amdhsa_user_sgpr_queue_ptr 0
		.amdhsa_user_sgpr_kernarg_segment_ptr 1
		.amdhsa_user_sgpr_dispatch_id 0
		.amdhsa_user_sgpr_kernarg_preload_length 0
		.amdhsa_user_sgpr_kernarg_preload_offset 0
		.amdhsa_user_sgpr_private_segment_size 0
		.amdhsa_wavefront_size32 1
		.amdhsa_uses_dynamic_stack 0
		.amdhsa_enable_private_segment 0
		.amdhsa_system_sgpr_workgroup_id_x 1
		.amdhsa_system_sgpr_workgroup_id_y 0
		.amdhsa_system_sgpr_workgroup_id_z 0
		.amdhsa_system_sgpr_workgroup_info 0
		.amdhsa_system_vgpr_workitem_id 0
		.amdhsa_next_free_vgpr 4
		.amdhsa_next_free_sgpr 10
		.amdhsa_named_barrier_count 0
		.amdhsa_reserve_vcc 1
		.amdhsa_float_round_mode_32 0
		.amdhsa_float_round_mode_16_64 0
		.amdhsa_float_denorm_mode_32 3
		.amdhsa_float_denorm_mode_16_64 3
		.amdhsa_fp16_overflow 0
		.amdhsa_memory_ordered 1
		.amdhsa_forward_progress 1
		.amdhsa_inst_pref_size 2
		.amdhsa_round_robin_scheduling 0
		.amdhsa_exception_fp_ieee_invalid_op 0
		.amdhsa_exception_fp_denorm_src 0
		.amdhsa_exception_fp_ieee_div_zero 0
		.amdhsa_exception_fp_ieee_overflow 0
		.amdhsa_exception_fp_ieee_underflow 0
		.amdhsa_exception_fp_ieee_inexact 0
		.amdhsa_exception_int_div_zero 0
	.end_amdhsa_kernel
	.text
.Lfunc_end5:
	.size	_Z12addTwoKernelPii, .Lfunc_end5-_Z12addTwoKernelPii
                                        ; -- End function
	.set _Z12addTwoKernelPii.num_vgpr, 4
	.set _Z12addTwoKernelPii.num_agpr, 0
	.set _Z12addTwoKernelPii.numbered_sgpr, 10
	.set _Z12addTwoKernelPii.num_named_barrier, 0
	.set _Z12addTwoKernelPii.private_seg_size, 0
	.set _Z12addTwoKernelPii.uses_vcc, 1
	.set _Z12addTwoKernelPii.uses_flat_scratch, 0
	.set _Z12addTwoKernelPii.has_dyn_sized_stack, 0
	.set _Z12addTwoKernelPii.has_recursion, 0
	.set _Z12addTwoKernelPii.has_indirect_call, 0
	.section	.AMDGPU.csdata,"",@progbits
; Kernel info:
; codeLenInByte = 228
; TotalNumSgprs: 12
; NumVgprs: 4
; ScratchSize: 0
; MemoryBound: 0
; FloatMode: 240
; IeeeMode: 1
; LDSByteSize: 0 bytes/workgroup (compile time only)
; SGPRBlocks: 0
; VGPRBlocks: 0
; NumSGPRsForWavesPerEU: 12
; NumVGPRsForWavesPerEU: 4
; NamedBarCnt: 0
; Occupancy: 16
; WaveLimiterHint : 0
; COMPUTE_PGM_RSRC2:SCRATCH_EN: 0
; COMPUTE_PGM_RSRC2:USER_SGPR: 2
; COMPUTE_PGM_RSRC2:TRAP_HANDLER: 0
; COMPUTE_PGM_RSRC2:TGID_X_EN: 1
; COMPUTE_PGM_RSRC2:TGID_Y_EN: 0
; COMPUTE_PGM_RSRC2:TGID_Z_EN: 0
; COMPUTE_PGM_RSRC2:TIDIG_COMP_CNT: 0
	.text
	.protected	_Z12simpleKernelv       ; -- Begin function _Z12simpleKernelv
	.globl	_Z12simpleKernelv
	.p2align	8
	.type	_Z12simpleKernelv,@function
_Z12simpleKernelv:                      ; @_Z12simpleKernelv
; %bb.0:
	s_endpgm
	.section	.rodata,"a",@progbits
	.p2align	6, 0x0
	.amdhsa_kernel _Z12simpleKernelv
		.amdhsa_group_segment_fixed_size 0
		.amdhsa_private_segment_fixed_size 0
		.amdhsa_kernarg_size 0
		.amdhsa_user_sgpr_count 0
		.amdhsa_user_sgpr_dispatch_ptr 0
		.amdhsa_user_sgpr_queue_ptr 0
		.amdhsa_user_sgpr_kernarg_segment_ptr 0
		.amdhsa_user_sgpr_dispatch_id 0
		.amdhsa_user_sgpr_kernarg_preload_length 0
		.amdhsa_user_sgpr_kernarg_preload_offset 0
		.amdhsa_user_sgpr_private_segment_size 0
		.amdhsa_wavefront_size32 1
		.amdhsa_uses_dynamic_stack 0
		.amdhsa_enable_private_segment 0
		.amdhsa_system_sgpr_workgroup_id_x 1
		.amdhsa_system_sgpr_workgroup_id_y 0
		.amdhsa_system_sgpr_workgroup_id_z 0
		.amdhsa_system_sgpr_workgroup_info 0
		.amdhsa_system_vgpr_workitem_id 0
		.amdhsa_next_free_vgpr 1
		.amdhsa_next_free_sgpr 1
		.amdhsa_named_barrier_count 0
		.amdhsa_reserve_vcc 0
		.amdhsa_float_round_mode_32 0
		.amdhsa_float_round_mode_16_64 0
		.amdhsa_float_denorm_mode_32 3
		.amdhsa_float_denorm_mode_16_64 3
		.amdhsa_fp16_overflow 0
		.amdhsa_memory_ordered 1
		.amdhsa_forward_progress 1
		.amdhsa_inst_pref_size 1
		.amdhsa_round_robin_scheduling 0
		.amdhsa_exception_fp_ieee_invalid_op 0
		.amdhsa_exception_fp_denorm_src 0
		.amdhsa_exception_fp_ieee_div_zero 0
		.amdhsa_exception_fp_ieee_overflow 0
		.amdhsa_exception_fp_ieee_underflow 0
		.amdhsa_exception_fp_ieee_inexact 0
		.amdhsa_exception_int_div_zero 0
	.end_amdhsa_kernel
	.text
.Lfunc_end6:
	.size	_Z12simpleKernelv, .Lfunc_end6-_Z12simpleKernelv
                                        ; -- End function
	.set _Z12simpleKernelv.num_vgpr, 0
	.set _Z12simpleKernelv.num_agpr, 0
	.set _Z12simpleKernelv.numbered_sgpr, 0
	.set _Z12simpleKernelv.num_named_barrier, 0
	.set _Z12simpleKernelv.private_seg_size, 0
	.set _Z12simpleKernelv.uses_vcc, 0
	.set _Z12simpleKernelv.uses_flat_scratch, 0
	.set _Z12simpleKernelv.has_dyn_sized_stack, 0
	.set _Z12simpleKernelv.has_recursion, 0
	.set _Z12simpleKernelv.has_indirect_call, 0
	.section	.AMDGPU.csdata,"",@progbits
; Kernel info:
; codeLenInByte = 4
; TotalNumSgprs: 0
; NumVgprs: 0
; ScratchSize: 0
; MemoryBound: 0
; FloatMode: 240
; IeeeMode: 1
; LDSByteSize: 0 bytes/workgroup (compile time only)
; SGPRBlocks: 0
; VGPRBlocks: 0
; NumSGPRsForWavesPerEU: 1
; NumVGPRsForWavesPerEU: 1
; NamedBarCnt: 0
; Occupancy: 16
; WaveLimiterHint : 0
; COMPUTE_PGM_RSRC2:SCRATCH_EN: 0
; COMPUTE_PGM_RSRC2:USER_SGPR: 0
; COMPUTE_PGM_RSRC2:TRAP_HANDLER: 0
; COMPUTE_PGM_RSRC2:TGID_X_EN: 1
; COMPUTE_PGM_RSRC2:TGID_Y_EN: 0
; COMPUTE_PGM_RSRC2:TGID_Z_EN: 0
; COMPUTE_PGM_RSRC2:TIDIG_COMP_CNT: 0
	.text
	.protected	_Z12addTenKernelPi      ; -- Begin function _Z12addTenKernelPi
	.globl	_Z12addTenKernelPi
	.p2align	8
	.type	_Z12addTenKernelPi,@function
_Z12addTenKernelPi:                     ; @_Z12addTenKernelPi
; %bb.0:
	s_load_b64 s[0:1], s[0:1], 0x0
	s_wait_kmcnt 0x0
	s_load_b32 s2, s[0:1], 0x0
	s_wait_kmcnt 0x0
	s_add_co_i32 s2, s2, 10
	s_delay_alu instid0(SALU_CYCLE_1)
	v_dual_mov_b32 v0, 0 :: v_dual_mov_b32 v1, s2
	global_store_b32 v0, v1, s[0:1]
	s_endpgm
	.section	.rodata,"a",@progbits
	.p2align	6, 0x0
	.amdhsa_kernel _Z12addTenKernelPi
		.amdhsa_group_segment_fixed_size 0
		.amdhsa_private_segment_fixed_size 0
		.amdhsa_kernarg_size 8
		.amdhsa_user_sgpr_count 2
		.amdhsa_user_sgpr_dispatch_ptr 0
		.amdhsa_user_sgpr_queue_ptr 0
		.amdhsa_user_sgpr_kernarg_segment_ptr 1
		.amdhsa_user_sgpr_dispatch_id 0
		.amdhsa_user_sgpr_kernarg_preload_length 0
		.amdhsa_user_sgpr_kernarg_preload_offset 0
		.amdhsa_user_sgpr_private_segment_size 0
		.amdhsa_wavefront_size32 1
		.amdhsa_uses_dynamic_stack 0
		.amdhsa_enable_private_segment 0
		.amdhsa_system_sgpr_workgroup_id_x 1
		.amdhsa_system_sgpr_workgroup_id_y 0
		.amdhsa_system_sgpr_workgroup_id_z 0
		.amdhsa_system_sgpr_workgroup_info 0
		.amdhsa_system_vgpr_workitem_id 0
		.amdhsa_next_free_vgpr 2
		.amdhsa_next_free_sgpr 3
		.amdhsa_named_barrier_count 0
		.amdhsa_reserve_vcc 0
		.amdhsa_float_round_mode_32 0
		.amdhsa_float_round_mode_16_64 0
		.amdhsa_float_denorm_mode_32 3
		.amdhsa_float_denorm_mode_16_64 3
		.amdhsa_fp16_overflow 0
		.amdhsa_memory_ordered 1
		.amdhsa_forward_progress 1
		.amdhsa_inst_pref_size 1
		.amdhsa_round_robin_scheduling 0
		.amdhsa_exception_fp_ieee_invalid_op 0
		.amdhsa_exception_fp_denorm_src 0
		.amdhsa_exception_fp_ieee_div_zero 0
		.amdhsa_exception_fp_ieee_overflow 0
		.amdhsa_exception_fp_ieee_underflow 0
		.amdhsa_exception_fp_ieee_inexact 0
		.amdhsa_exception_int_div_zero 0
	.end_amdhsa_kernel
	.text
.Lfunc_end7:
	.size	_Z12addTenKernelPi, .Lfunc_end7-_Z12addTenKernelPi
                                        ; -- End function
	.set _Z12addTenKernelPi.num_vgpr, 2
	.set _Z12addTenKernelPi.num_agpr, 0
	.set _Z12addTenKernelPi.numbered_sgpr, 3
	.set _Z12addTenKernelPi.num_named_barrier, 0
	.set _Z12addTenKernelPi.private_seg_size, 0
	.set _Z12addTenKernelPi.uses_vcc, 0
	.set _Z12addTenKernelPi.uses_flat_scratch, 0
	.set _Z12addTenKernelPi.has_dyn_sized_stack, 0
	.set _Z12addTenKernelPi.has_recursion, 0
	.set _Z12addTenKernelPi.has_indirect_call, 0
	.section	.AMDGPU.csdata,"",@progbits
; Kernel info:
; codeLenInByte = 56
; TotalNumSgprs: 3
; NumVgprs: 2
; ScratchSize: 0
; MemoryBound: 0
; FloatMode: 240
; IeeeMode: 1
; LDSByteSize: 0 bytes/workgroup (compile time only)
; SGPRBlocks: 0
; VGPRBlocks: 0
; NumSGPRsForWavesPerEU: 3
; NumVGPRsForWavesPerEU: 2
; NamedBarCnt: 0
; Occupancy: 16
; WaveLimiterHint : 0
; COMPUTE_PGM_RSRC2:SCRATCH_EN: 0
; COMPUTE_PGM_RSRC2:USER_SGPR: 2
; COMPUTE_PGM_RSRC2:TRAP_HANDLER: 0
; COMPUTE_PGM_RSRC2:TGID_X_EN: 1
; COMPUTE_PGM_RSRC2:TGID_Y_EN: 0
; COMPUTE_PGM_RSRC2:TGID_Z_EN: 0
; COMPUTE_PGM_RSRC2:TIDIG_COMP_CNT: 0
	.text
	.p2alignl 7, 3214868480
	.fill 96, 4, 3214868480
	.section	.AMDGPU.gpr_maximums,"",@progbits
	.set amdgpu.max_num_vgpr, 0
	.set amdgpu.max_num_agpr, 0
	.set amdgpu.max_num_sgpr, 0
	.text
	.type	__hip_cuid_81c6a46638705cf8,@object ; @__hip_cuid_81c6a46638705cf8
	.section	.bss,"aw",@nobits
	.globl	__hip_cuid_81c6a46638705cf8
__hip_cuid_81c6a46638705cf8:
	.byte	0                               ; 0x0
	.size	__hip_cuid_81c6a46638705cf8, 1

	.ident	"AMD clang version 22.0.0git (https://github.com/RadeonOpenCompute/llvm-project roc-7.2.4 26084 f58b06dce1f9c15707c5f808fd002e18c2accf7e)"
	.section	".note.GNU-stack","",@progbits
	.addrsig
	.addrsig_sym __hip_cuid_81c6a46638705cf8
	.amdgpu_metadata
---
amdhsa.kernels:
  - .args:
      - .offset:         0
        .size:           4
        .value_kind:     by_value
      - .offset:         4
        .size:           4
        .value_kind:     by_value
    .group_segment_fixed_size: 0
    .kernarg_segment_align: 4
    .kernarg_segment_size: 8
    .language:       OpenCL C
    .language_version:
      - 2
      - 0
    .max_flat_workgroup_size: 1024
    .name:           _ZL5Delayjj
    .private_segment_fixed_size: 0
    .sgpr_count:     10
    .sgpr_spill_count: 0
    .symbol:         _ZL5Delayjj.kd
    .uniform_work_group_size: 1
    .uses_dynamic_stack: false
    .vgpr_count:     0
    .vgpr_spill_count: 0
    .wavefront_size: 32
  - .args:
      - .address_space:  global
        .offset:         0
        .size:           8
        .value_kind:     global_buffer
      - .offset:         8
        .size:           4
        .value_kind:     by_value
      - .offset:         12
        .size:           4
        .value_kind:     by_value
      - .address_space:  global
        .offset:         16
        .size:           8
        .value_kind:     global_buffer
    .group_segment_fixed_size: 0
    .kernarg_segment_align: 8
    .kernarg_segment_size: 24
    .language:       OpenCL C
    .language_version:
      - 2
      - 0
    .max_flat_workgroup_size: 1024
    .name:           _Z11verifyArrayPiiiS_
    .private_segment_fixed_size: 0
    .sgpr_count:     10
    .sgpr_spill_count: 0
    .symbol:         _Z11verifyArrayPiiiS_.kd
    .uniform_work_group_size: 1
    .uses_dynamic_stack: false
    .vgpr_count:     2
    .vgpr_spill_count: 0
    .wavefront_size: 32
  - .args:
      - .address_space:  global
        .offset:         0
        .size:           8
        .value_kind:     global_buffer
      - .offset:         8
        .size:           4
        .value_kind:     by_value
      - .offset:         12
        .size:           4
        .value_kind:     by_value
      - .address_space:  global
        .offset:         16
        .size:           8
        .value_kind:     global_buffer
    .group_segment_fixed_size: 0
    .kernarg_segment_align: 8
    .kernarg_segment_size: 24
    .language:       OpenCL C
    .language_version:
      - 2
      - 0
    .max_flat_workgroup_size: 1024
    .name:           _Z15verifyCharArrayPciiPi
    .private_segment_fixed_size: 0
    .sgpr_count:     10
    .sgpr_spill_count: 0
    .symbol:         _Z15verifyCharArrayPciiPi.kd
    .uniform_work_group_size: 1
    .uses_dynamic_stack: false
    .vgpr_count:     2
    .vgpr_spill_count: 0
    .wavefront_size: 32
  - .args:
      - .address_space:  global
        .offset:         0
        .size:           8
        .value_kind:     global_buffer
      - .offset:         8
        .size:           4
        .value_kind:     by_value
      - .offset:         12
        .size:           4
        .value_kind:     by_value
    .group_segment_fixed_size: 0
    .kernarg_segment_align: 8
    .kernarg_segment_size: 16
    .language:       OpenCL C
    .language_version:
      - 2
      - 0
    .max_flat_workgroup_size: 1024
    .name:           _Z9fillArrayPiii
    .private_segment_fixed_size: 0
    .sgpr_count:     10
    .sgpr_spill_count: 0
    .symbol:         _Z9fillArrayPiii.kd
    .uniform_work_group_size: 1
    .uses_dynamic_stack: false
    .vgpr_count:     5
    .vgpr_spill_count: 0
    .wavefront_size: 32
  - .args:
      - .address_space:  global
        .offset:         0
        .size:           8
        .value_kind:     global_buffer
      - .offset:         8
        .size:           4
        .value_kind:     by_value
      - .offset:         16
        .size:           4
        .value_kind:     hidden_block_count_x
      - .offset:         20
        .size:           4
        .value_kind:     hidden_block_count_y
      - .offset:         24
        .size:           4
        .value_kind:     hidden_block_count_z
      - .offset:         28
        .size:           2
        .value_kind:     hidden_group_size_x
      - .offset:         30
        .size:           2
        .value_kind:     hidden_group_size_y
      - .offset:         32
        .size:           2
        .value_kind:     hidden_group_size_z
      - .offset:         34
        .size:           2
        .value_kind:     hidden_remainder_x
      - .offset:         36
        .size:           2
        .value_kind:     hidden_remainder_y
      - .offset:         38
        .size:           2
        .value_kind:     hidden_remainder_z
      - .offset:         56
        .size:           8
        .value_kind:     hidden_global_offset_x
      - .offset:         64
        .size:           8
        .value_kind:     hidden_global_offset_y
      - .offset:         72
        .size:           8
        .value_kind:     hidden_global_offset_z
      - .offset:         80
        .size:           2
        .value_kind:     hidden_grid_dims
    .group_segment_fixed_size: 0
    .kernarg_segment_align: 8
    .kernarg_segment_size: 272
    .language:       OpenCL C
    .language_version:
      - 2
      - 0
    .max_flat_workgroup_size: 1024
    .name:           _Z12addOneKernelPii
    .private_segment_fixed_size: 0
    .sgpr_count:     12
    .sgpr_spill_count: 0
    .symbol:         _Z12addOneKernelPii.kd
    .uniform_work_group_size: 1
    .uses_dynamic_stack: false
    .vgpr_count:     4
    .vgpr_spill_count: 0
    .wavefront_size: 32
  - .args:
      - .address_space:  global
        .offset:         0
        .size:           8
        .value_kind:     global_buffer
      - .offset:         8
        .size:           4
        .value_kind:     by_value
      - .offset:         16
        .size:           4
        .value_kind:     hidden_block_count_x
      - .offset:         20
        .size:           4
        .value_kind:     hidden_block_count_y
      - .offset:         24
        .size:           4
        .value_kind:     hidden_block_count_z
      - .offset:         28
        .size:           2
        .value_kind:     hidden_group_size_x
      - .offset:         30
        .size:           2
        .value_kind:     hidden_group_size_y
      - .offset:         32
        .size:           2
        .value_kind:     hidden_group_size_z
      - .offset:         34
        .size:           2
        .value_kind:     hidden_remainder_x
      - .offset:         36
        .size:           2
        .value_kind:     hidden_remainder_y
      - .offset:         38
        .size:           2
        .value_kind:     hidden_remainder_z
      - .offset:         56
        .size:           8
        .value_kind:     hidden_global_offset_x
      - .offset:         64
        .size:           8
        .value_kind:     hidden_global_offset_y
      - .offset:         72
        .size:           8
        .value_kind:     hidden_global_offset_z
      - .offset:         80
        .size:           2
        .value_kind:     hidden_grid_dims
    .group_segment_fixed_size: 0
    .kernarg_segment_align: 8
    .kernarg_segment_size: 272
    .language:       OpenCL C
    .language_version:
      - 2
      - 0
    .max_flat_workgroup_size: 1024
    .name:           _Z12addTwoKernelPii
    .private_segment_fixed_size: 0
    .sgpr_count:     12
    .sgpr_spill_count: 0
    .symbol:         _Z12addTwoKernelPii.kd
    .uniform_work_group_size: 1
    .uses_dynamic_stack: false
    .vgpr_count:     4
    .vgpr_spill_count: 0
    .wavefront_size: 32
  - .args:           []
    .group_segment_fixed_size: 0
    .kernarg_segment_align: 4
    .kernarg_segment_size: 0
    .language:       OpenCL C
    .language_version:
      - 2
      - 0
    .max_flat_workgroup_size: 1024
    .name:           _Z12simpleKernelv
    .private_segment_fixed_size: 0
    .sgpr_count:     0
    .sgpr_spill_count: 0
    .symbol:         _Z12simpleKernelv.kd
    .uniform_work_group_size: 1
    .uses_dynamic_stack: false
    .vgpr_count:     0
    .vgpr_spill_count: 0
    .wavefront_size: 32
  - .args:
      - .address_space:  global
        .offset:         0
        .size:           8
        .value_kind:     global_buffer
    .group_segment_fixed_size: 0
    .kernarg_segment_align: 8
    .kernarg_segment_size: 8
    .language:       OpenCL C
    .language_version:
      - 2
      - 0
    .max_flat_workgroup_size: 1024
    .name:           _Z12addTenKernelPi
    .private_segment_fixed_size: 0
    .sgpr_count:     3
    .sgpr_spill_count: 0
    .symbol:         _Z12addTenKernelPi.kd
    .uniform_work_group_size: 1
    .uses_dynamic_stack: false
    .vgpr_count:     2
    .vgpr_spill_count: 0
    .wavefront_size: 32
amdhsa.target:   amdgcn-amd-amdhsa--gfx1250
amdhsa.version:
  - 1
  - 2
...

	.end_amdgpu_metadata
